;; amdgpu-corpus repo=ROCm/rocFFT kind=compiled arch=gfx906 opt=O3
	.text
	.amdgcn_target "amdgcn-amd-amdhsa--gfx906"
	.amdhsa_code_object_version 6
	.protected	fft_rtc_fwd_len1750_factors_2_5_5_7_5_wgs_175_tpt_175_halfLds_dp_ip_CI_unitstride_sbrr_C2R_dirReg ; -- Begin function fft_rtc_fwd_len1750_factors_2_5_5_7_5_wgs_175_tpt_175_halfLds_dp_ip_CI_unitstride_sbrr_C2R_dirReg
	.globl	fft_rtc_fwd_len1750_factors_2_5_5_7_5_wgs_175_tpt_175_halfLds_dp_ip_CI_unitstride_sbrr_C2R_dirReg
	.p2align	8
	.type	fft_rtc_fwd_len1750_factors_2_5_5_7_5_wgs_175_tpt_175_halfLds_dp_ip_CI_unitstride_sbrr_C2R_dirReg,@function
fft_rtc_fwd_len1750_factors_2_5_5_7_5_wgs_175_tpt_175_halfLds_dp_ip_CI_unitstride_sbrr_C2R_dirReg: ; @fft_rtc_fwd_len1750_factors_2_5_5_7_5_wgs_175_tpt_175_halfLds_dp_ip_CI_unitstride_sbrr_C2R_dirReg
; %bb.0:
	s_load_dwordx2 s[2:3], s[4:5], 0x50
	s_load_dwordx4 s[8:11], s[4:5], 0x0
	s_load_dwordx2 s[12:13], s[4:5], 0x18
	v_mul_u32_u24_e32 v1, 0x177, v0
	v_add_u32_sdwa v5, s6, v1 dst_sel:DWORD dst_unused:UNUSED_PAD src0_sel:DWORD src1_sel:WORD_1
	v_mov_b32_e32 v3, 0
	s_waitcnt lgkmcnt(0)
	v_cmp_lt_u64_e64 s[0:1], s[10:11], 2
	v_mov_b32_e32 v1, 0
	v_mov_b32_e32 v6, v3
	s_and_b64 vcc, exec, s[0:1]
	v_mov_b32_e32 v2, 0
	s_cbranch_vccnz .LBB0_8
; %bb.1:
	s_load_dwordx2 s[0:1], s[4:5], 0x10
	s_add_u32 s6, s12, 8
	s_addc_u32 s7, s13, 0
	v_mov_b32_e32 v1, 0
	v_mov_b32_e32 v2, 0
	s_waitcnt lgkmcnt(0)
	s_add_u32 s14, s0, 8
	s_addc_u32 s15, s1, 0
	s_mov_b64 s[16:17], 1
.LBB0_2:                                ; =>This Inner Loop Header: Depth=1
	s_load_dwordx2 s[18:19], s[14:15], 0x0
                                        ; implicit-def: $vgpr7_vgpr8
	s_waitcnt lgkmcnt(0)
	v_or_b32_e32 v4, s19, v6
	v_cmp_ne_u64_e32 vcc, 0, v[3:4]
	s_and_saveexec_b64 s[0:1], vcc
	s_xor_b64 s[20:21], exec, s[0:1]
	s_cbranch_execz .LBB0_4
; %bb.3:                                ;   in Loop: Header=BB0_2 Depth=1
	v_cvt_f32_u32_e32 v4, s18
	v_cvt_f32_u32_e32 v7, s19
	s_sub_u32 s0, 0, s18
	s_subb_u32 s1, 0, s19
	v_mac_f32_e32 v4, 0x4f800000, v7
	v_rcp_f32_e32 v4, v4
	v_mul_f32_e32 v4, 0x5f7ffffc, v4
	v_mul_f32_e32 v7, 0x2f800000, v4
	v_trunc_f32_e32 v7, v7
	v_mac_f32_e32 v4, 0xcf800000, v7
	v_cvt_u32_f32_e32 v7, v7
	v_cvt_u32_f32_e32 v4, v4
	v_mul_lo_u32 v8, s0, v7
	v_mul_hi_u32 v9, s0, v4
	v_mul_lo_u32 v11, s1, v4
	v_mul_lo_u32 v10, s0, v4
	v_add_u32_e32 v8, v9, v8
	v_add_u32_e32 v8, v8, v11
	v_mul_hi_u32 v9, v4, v10
	v_mul_lo_u32 v11, v4, v8
	v_mul_hi_u32 v13, v4, v8
	v_mul_hi_u32 v12, v7, v10
	v_mul_lo_u32 v10, v7, v10
	v_mul_hi_u32 v14, v7, v8
	v_add_co_u32_e32 v9, vcc, v9, v11
	v_addc_co_u32_e32 v11, vcc, 0, v13, vcc
	v_mul_lo_u32 v8, v7, v8
	v_add_co_u32_e32 v9, vcc, v9, v10
	v_addc_co_u32_e32 v9, vcc, v11, v12, vcc
	v_addc_co_u32_e32 v10, vcc, 0, v14, vcc
	v_add_co_u32_e32 v8, vcc, v9, v8
	v_addc_co_u32_e32 v9, vcc, 0, v10, vcc
	v_add_co_u32_e32 v4, vcc, v4, v8
	v_addc_co_u32_e32 v7, vcc, v7, v9, vcc
	v_mul_lo_u32 v8, s0, v7
	v_mul_hi_u32 v9, s0, v4
	v_mul_lo_u32 v10, s1, v4
	v_mul_lo_u32 v11, s0, v4
	v_add_u32_e32 v8, v9, v8
	v_add_u32_e32 v8, v8, v10
	v_mul_lo_u32 v12, v4, v8
	v_mul_hi_u32 v13, v4, v11
	v_mul_hi_u32 v14, v4, v8
	;; [unrolled: 1-line block ×3, first 2 shown]
	v_mul_lo_u32 v11, v7, v11
	v_mul_hi_u32 v9, v7, v8
	v_add_co_u32_e32 v12, vcc, v13, v12
	v_addc_co_u32_e32 v13, vcc, 0, v14, vcc
	v_mul_lo_u32 v8, v7, v8
	v_add_co_u32_e32 v11, vcc, v12, v11
	v_addc_co_u32_e32 v10, vcc, v13, v10, vcc
	v_addc_co_u32_e32 v9, vcc, 0, v9, vcc
	v_add_co_u32_e32 v8, vcc, v10, v8
	v_addc_co_u32_e32 v9, vcc, 0, v9, vcc
	v_add_co_u32_e32 v4, vcc, v4, v8
	v_addc_co_u32_e32 v9, vcc, v7, v9, vcc
	v_mad_u64_u32 v[7:8], s[0:1], v5, v9, 0
	v_mul_hi_u32 v10, v5, v4
	v_add_co_u32_e32 v11, vcc, v10, v7
	v_addc_co_u32_e32 v12, vcc, 0, v8, vcc
	v_mad_u64_u32 v[7:8], s[0:1], v6, v4, 0
	v_mad_u64_u32 v[9:10], s[0:1], v6, v9, 0
	v_add_co_u32_e32 v4, vcc, v11, v7
	v_addc_co_u32_e32 v4, vcc, v12, v8, vcc
	v_addc_co_u32_e32 v7, vcc, 0, v10, vcc
	v_add_co_u32_e32 v4, vcc, v4, v9
	v_addc_co_u32_e32 v9, vcc, 0, v7, vcc
	v_mul_lo_u32 v10, s19, v4
	v_mul_lo_u32 v11, s18, v9
	v_mad_u64_u32 v[7:8], s[0:1], s18, v4, 0
	v_add3_u32 v8, v8, v11, v10
	v_sub_u32_e32 v10, v6, v8
	v_mov_b32_e32 v11, s19
	v_sub_co_u32_e32 v7, vcc, v5, v7
	v_subb_co_u32_e64 v10, s[0:1], v10, v11, vcc
	v_subrev_co_u32_e64 v11, s[0:1], s18, v7
	v_subbrev_co_u32_e64 v10, s[0:1], 0, v10, s[0:1]
	v_cmp_le_u32_e64 s[0:1], s19, v10
	v_cndmask_b32_e64 v12, 0, -1, s[0:1]
	v_cmp_le_u32_e64 s[0:1], s18, v11
	v_cndmask_b32_e64 v11, 0, -1, s[0:1]
	v_cmp_eq_u32_e64 s[0:1], s19, v10
	v_cndmask_b32_e64 v10, v12, v11, s[0:1]
	v_add_co_u32_e64 v11, s[0:1], 2, v4
	v_addc_co_u32_e64 v12, s[0:1], 0, v9, s[0:1]
	v_add_co_u32_e64 v13, s[0:1], 1, v4
	v_addc_co_u32_e64 v14, s[0:1], 0, v9, s[0:1]
	v_subb_co_u32_e32 v8, vcc, v6, v8, vcc
	v_cmp_ne_u32_e64 s[0:1], 0, v10
	v_cmp_le_u32_e32 vcc, s19, v8
	v_cndmask_b32_e64 v10, v14, v12, s[0:1]
	v_cndmask_b32_e64 v12, 0, -1, vcc
	v_cmp_le_u32_e32 vcc, s18, v7
	v_cndmask_b32_e64 v7, 0, -1, vcc
	v_cmp_eq_u32_e32 vcc, s19, v8
	v_cndmask_b32_e32 v7, v12, v7, vcc
	v_cmp_ne_u32_e32 vcc, 0, v7
	v_cndmask_b32_e64 v7, v13, v11, s[0:1]
	v_cndmask_b32_e32 v8, v9, v10, vcc
	v_cndmask_b32_e32 v7, v4, v7, vcc
.LBB0_4:                                ;   in Loop: Header=BB0_2 Depth=1
	s_andn2_saveexec_b64 s[0:1], s[20:21]
	s_cbranch_execz .LBB0_6
; %bb.5:                                ;   in Loop: Header=BB0_2 Depth=1
	v_cvt_f32_u32_e32 v4, s18
	s_sub_i32 s20, 0, s18
	v_rcp_iflag_f32_e32 v4, v4
	v_mul_f32_e32 v4, 0x4f7ffffe, v4
	v_cvt_u32_f32_e32 v4, v4
	v_mul_lo_u32 v7, s20, v4
	v_mul_hi_u32 v7, v4, v7
	v_add_u32_e32 v4, v4, v7
	v_mul_hi_u32 v4, v5, v4
	v_mul_lo_u32 v7, v4, s18
	v_add_u32_e32 v8, 1, v4
	v_sub_u32_e32 v7, v5, v7
	v_subrev_u32_e32 v9, s18, v7
	v_cmp_le_u32_e32 vcc, s18, v7
	v_cndmask_b32_e32 v7, v7, v9, vcc
	v_cndmask_b32_e32 v4, v4, v8, vcc
	v_add_u32_e32 v8, 1, v4
	v_cmp_le_u32_e32 vcc, s18, v7
	v_cndmask_b32_e32 v7, v4, v8, vcc
	v_mov_b32_e32 v8, v3
.LBB0_6:                                ;   in Loop: Header=BB0_2 Depth=1
	s_or_b64 exec, exec, s[0:1]
	v_mul_lo_u32 v4, v8, s18
	v_mul_lo_u32 v11, v7, s19
	v_mad_u64_u32 v[9:10], s[0:1], v7, s18, 0
	s_load_dwordx2 s[0:1], s[6:7], 0x0
	s_add_u32 s16, s16, 1
	v_add3_u32 v4, v10, v11, v4
	v_sub_co_u32_e32 v5, vcc, v5, v9
	v_subb_co_u32_e32 v4, vcc, v6, v4, vcc
	s_waitcnt lgkmcnt(0)
	v_mul_lo_u32 v4, s0, v4
	v_mul_lo_u32 v6, s1, v5
	v_mad_u64_u32 v[1:2], s[0:1], s0, v5, v[1:2]
	s_addc_u32 s17, s17, 0
	s_add_u32 s6, s6, 8
	v_add3_u32 v2, v6, v2, v4
	v_mov_b32_e32 v4, s10
	v_mov_b32_e32 v5, s11
	s_addc_u32 s7, s7, 0
	v_cmp_ge_u64_e32 vcc, s[16:17], v[4:5]
	s_add_u32 s14, s14, 8
	s_addc_u32 s15, s15, 0
	s_cbranch_vccnz .LBB0_9
; %bb.7:                                ;   in Loop: Header=BB0_2 Depth=1
	v_mov_b32_e32 v5, v7
	v_mov_b32_e32 v6, v8
	s_branch .LBB0_2
.LBB0_8:
	v_mov_b32_e32 v8, v6
	v_mov_b32_e32 v7, v5
.LBB0_9:
	s_lshl_b64 s[0:1], s[10:11], 3
	s_add_u32 s0, s12, s0
	s_addc_u32 s1, s13, s1
	s_load_dwordx2 s[6:7], s[0:1], 0x0
	s_load_dwordx2 s[10:11], s[4:5], 0x20
	s_waitcnt lgkmcnt(0)
	v_mad_u64_u32 v[1:2], s[0:1], s6, v7, v[1:2]
	v_mul_lo_u32 v3, s6, v8
	v_mul_lo_u32 v4, s7, v7
	s_mov_b32 s0, 0x1767dcf
	v_mul_hi_u32 v5, v0, s0
	v_cmp_gt_u64_e64 s[0:1], s[10:11], v[7:8]
	v_add3_u32 v2, v4, v2, v3
	v_lshlrev_b64 v[58:59], 4, v[1:2]
	v_mul_u32_u24_e32 v3, 0xaf, v5
	v_sub_u32_e32 v56, v0, v3
	s_and_saveexec_b64 s[4:5], s[0:1]
	s_cbranch_execz .LBB0_13
; %bb.10:
	v_mov_b32_e32 v57, 0
	v_mov_b32_e32 v0, s3
	v_add_co_u32_e32 v1, vcc, s2, v58
	v_lshlrev_b64 v[2:3], 4, v[56:57]
	v_addc_co_u32_e32 v0, vcc, v0, v59, vcc
	v_add_co_u32_e32 v26, vcc, v1, v2
	v_addc_co_u32_e32 v27, vcc, v0, v3, vcc
	v_add_co_u32_e32 v18, vcc, 0x1000, v26
	;; [unrolled: 2-line block ×7, first 2 shown]
	global_load_dwordx4 v[2:5], v[26:27], off
	global_load_dwordx4 v[6:9], v[26:27], off offset:2800
	global_load_dwordx4 v[10:13], v[18:19], off offset:1504
	;; [unrolled: 1-line block ×3, first 2 shown]
	s_nop 0
	global_load_dwordx4 v[18:21], v[28:29], off offset:3008
	global_load_dwordx4 v[22:25], v[30:31], off offset:1712
	v_addc_co_u32_e32 v47, vcc, 0, v27, vcc
	global_load_dwordx4 v[26:29], v[42:43], off offset:416
	global_load_dwordx4 v[30:33], v[42:43], off offset:3216
	;; [unrolled: 1-line block ×4, first 2 shown]
	s_movk_i32 s6, 0xae
	v_lshl_add_u32 v42, v56, 4, 0
	v_cmp_eq_u32_e32 vcc, s6, v56
	s_waitcnt vmcnt(9)
	ds_write_b128 v42, v[2:5]
	s_waitcnt vmcnt(8)
	ds_write_b128 v42, v[6:9] offset:2800
	s_waitcnt vmcnt(7)
	ds_write_b128 v42, v[10:13] offset:5600
	;; [unrolled: 2-line block ×9, first 2 shown]
	s_and_saveexec_b64 s[6:7], vcc
	s_cbranch_execz .LBB0_12
; %bb.11:
	v_add_co_u32_e32 v1, vcc, 0x6000, v1
	v_addc_co_u32_e32 v2, vcc, 0, v0, vcc
	global_load_dwordx4 v[0:3], v[1:2], off offset:3424
	v_mov_b32_e32 v56, 0xae
	s_waitcnt vmcnt(0)
	ds_write_b128 v57, v[0:3] offset:28000
.LBB0_12:
	s_or_b64 exec, exec, s[6:7]
.LBB0_13:
	s_or_b64 exec, exec, s[4:5]
	v_lshlrev_b32_e32 v0, 4, v56
	v_add_u32_e32 v60, 0, v0
	s_waitcnt lgkmcnt(0)
	s_barrier
	v_sub_u32_e32 v10, 0, v0
	ds_read_b64 v[6:7], v60
	ds_read_b64 v[8:9], v10 offset:28000
	s_add_u32 s6, s8, 0x6d40
	s_addc_u32 s7, s9, 0
	v_cmp_ne_u32_e32 vcc, 0, v56
                                        ; implicit-def: $vgpr4_vgpr5
	s_waitcnt lgkmcnt(0)
	v_add_f64 v[0:1], v[6:7], v[8:9]
	v_add_f64 v[2:3], v[6:7], -v[8:9]
	s_and_saveexec_b64 s[4:5], vcc
	s_xor_b64 s[4:5], exec, s[4:5]
	s_cbranch_execz .LBB0_15
; %bb.14:
	v_mov_b32_e32 v57, 0
	v_lshlrev_b64 v[0:1], 4, v[56:57]
	v_mov_b32_e32 v2, s7
	v_add_co_u32_e32 v0, vcc, s6, v0
	v_addc_co_u32_e32 v1, vcc, v2, v1, vcc
	global_load_dwordx4 v[2:5], v[0:1], off
	ds_read_b64 v[0:1], v10 offset:28008
	ds_read_b64 v[11:12], v60 offset:8
	v_add_f64 v[13:14], v[6:7], v[8:9]
	v_add_f64 v[8:9], v[6:7], -v[8:9]
	s_waitcnt lgkmcnt(0)
	v_add_f64 v[15:16], v[0:1], v[11:12]
	v_add_f64 v[0:1], v[11:12], -v[0:1]
	s_waitcnt vmcnt(0)
	v_fma_f64 v[6:7], -v[8:9], v[4:5], v[13:14]
	v_fma_f64 v[11:12], v[15:16], v[4:5], -v[0:1]
	v_fma_f64 v[13:14], v[8:9], v[4:5], v[13:14]
	v_fma_f64 v[17:18], v[15:16], v[4:5], v[0:1]
	;; [unrolled: 1-line block ×4, first 2 shown]
	v_fma_f64 v[0:1], -v[15:16], v[2:3], v[13:14]
	v_fma_f64 v[2:3], v[8:9], v[2:3], v[17:18]
	ds_write_b128 v10, v[4:7] offset:28000
	v_mov_b32_e32 v4, v56
	v_mov_b32_e32 v5, v57
.LBB0_15:
	s_andn2_saveexec_b64 s[4:5], s[4:5]
	s_cbranch_execz .LBB0_17
; %bb.16:
	v_mov_b32_e32 v8, 0
	ds_read_b128 v[4:7], v8 offset:14000
	s_waitcnt lgkmcnt(0)
	v_add_f64 v[11:12], v[4:5], v[4:5]
	v_mul_f64 v[13:14], v[6:7], -2.0
	v_mov_b32_e32 v4, 0
	v_mov_b32_e32 v5, 0
	ds_write_b128 v8, v[11:14] offset:14000
.LBB0_17:
	s_or_b64 exec, exec, s[4:5]
	v_lshlrev_b64 v[4:5], 4, v[4:5]
	v_mov_b32_e32 v6, s7
	v_add_co_u32_e32 v8, vcc, s6, v4
	v_addc_co_u32_e32 v9, vcc, v6, v5, vcc
	global_load_dwordx4 v[4:7], v[8:9], off offset:2800
	s_movk_i32 s4, 0x1000
	v_add_co_u32_e32 v11, vcc, s4, v8
	v_addc_co_u32_e32 v12, vcc, 0, v9, vcc
	global_load_dwordx4 v[11:14], v[11:12], off offset:1504
	s_movk_i32 s4, 0x2000
	v_add_co_u32_e32 v23, vcc, s4, v8
	ds_write_b128 v60, v[0:3]
	v_addc_co_u32_e32 v24, vcc, 0, v9, vcc
	ds_read_b128 v[0:3], v60 offset:2800
	ds_read_b128 v[15:18], v10 offset:25200
	global_load_dwordx4 v[19:22], v[23:24], off offset:208
	v_add_u32_e32 v57, 0xaf, v56
	v_lshl_add_u32 v43, v57, 5, 0
	v_lshl_add_u32 v41, v56, 4, v60
	s_waitcnt lgkmcnt(0)
	v_add_f64 v[8:9], v[0:1], v[15:16]
	v_add_f64 v[25:26], v[17:18], v[2:3]
	v_add_f64 v[15:16], v[0:1], -v[15:16]
	v_add_f64 v[0:1], v[2:3], -v[17:18]
	v_lshl_add_u32 v42, v56, 5, 0
	s_movk_i32 s16, 0xcd
	s_mov_b32 s10, 0x134454ff
	s_mov_b32 s11, 0x3fee6f0e
	;; [unrolled: 1-line block ×10, first 2 shown]
	v_mov_b32_e32 v61, 6
	s_waitcnt vmcnt(2)
	v_fma_f64 v[2:3], v[15:16], v[6:7], v[8:9]
	v_fma_f64 v[17:18], v[25:26], v[6:7], v[0:1]
	v_fma_f64 v[8:9], -v[15:16], v[6:7], v[8:9]
	v_fma_f64 v[27:28], v[25:26], v[6:7], -v[0:1]
	v_fma_f64 v[0:1], -v[25:26], v[4:5], v[2:3]
	v_fma_f64 v[2:3], v[15:16], v[4:5], v[17:18]
	v_fma_f64 v[6:7], v[25:26], v[4:5], v[8:9]
	;; [unrolled: 1-line block ×3, first 2 shown]
	ds_write_b128 v60, v[0:3] offset:2800
	ds_write_b128 v10, v[6:9] offset:25200
	ds_read_b128 v[0:3], v60 offset:5600
	ds_read_b128 v[4:7], v10 offset:22400
	global_load_dwordx4 v[15:18], v[23:24], off offset:3008
	s_waitcnt lgkmcnt(0)
	v_add_f64 v[8:9], v[0:1], v[4:5]
	v_add_f64 v[23:24], v[6:7], v[2:3]
	v_add_f64 v[25:26], v[0:1], -v[4:5]
	v_add_f64 v[0:1], v[2:3], -v[6:7]
	s_waitcnt vmcnt(2)
	v_fma_f64 v[2:3], v[25:26], v[13:14], v[8:9]
	v_fma_f64 v[4:5], v[23:24], v[13:14], v[0:1]
	v_fma_f64 v[6:7], -v[25:26], v[13:14], v[8:9]
	v_fma_f64 v[8:9], v[23:24], v[13:14], -v[0:1]
	v_fma_f64 v[0:1], -v[23:24], v[11:12], v[2:3]
	v_fma_f64 v[2:3], v[25:26], v[11:12], v[4:5]
	v_fma_f64 v[4:5], v[23:24], v[11:12], v[6:7]
	;; [unrolled: 1-line block ×3, first 2 shown]
	ds_write_b128 v60, v[0:3] offset:5600
	ds_write_b128 v10, v[4:7] offset:22400
	ds_read_b128 v[0:3], v60 offset:8400
	ds_read_b128 v[4:7], v10 offset:19600
	v_and_b32_e32 v24, 1, v56
	v_lshlrev_b32_e32 v44, 6, v24
	s_waitcnt lgkmcnt(0)
	v_add_f64 v[8:9], v[0:1], v[4:5]
	v_add_f64 v[11:12], v[6:7], v[2:3]
	v_add_f64 v[13:14], v[0:1], -v[4:5]
	v_add_f64 v[0:1], v[2:3], -v[6:7]
	s_waitcnt vmcnt(1)
	v_fma_f64 v[2:3], v[13:14], v[21:22], v[8:9]
	v_fma_f64 v[4:5], v[11:12], v[21:22], v[0:1]
	v_fma_f64 v[6:7], -v[13:14], v[21:22], v[8:9]
	v_fma_f64 v[8:9], v[11:12], v[21:22], -v[0:1]
	v_fma_f64 v[0:1], -v[11:12], v[19:20], v[2:3]
	v_fma_f64 v[2:3], v[13:14], v[19:20], v[4:5]
	v_fma_f64 v[4:5], v[11:12], v[19:20], v[6:7]
	;; [unrolled: 1-line block ×3, first 2 shown]
	ds_write_b128 v60, v[0:3] offset:8400
	ds_write_b128 v10, v[4:7] offset:19600
	ds_read_b128 v[0:3], v60 offset:11200
	ds_read_b128 v[4:7], v10 offset:16800
	s_waitcnt lgkmcnt(0)
	v_add_f64 v[8:9], v[0:1], v[4:5]
	v_add_f64 v[11:12], v[6:7], v[2:3]
	v_add_f64 v[13:14], v[0:1], -v[4:5]
	v_add_f64 v[0:1], v[2:3], -v[6:7]
	s_waitcnt vmcnt(0)
	v_fma_f64 v[2:3], v[13:14], v[17:18], v[8:9]
	v_fma_f64 v[4:5], v[11:12], v[17:18], v[0:1]
	v_fma_f64 v[6:7], -v[13:14], v[17:18], v[8:9]
	v_fma_f64 v[8:9], v[11:12], v[17:18], -v[0:1]
	v_fma_f64 v[0:1], -v[11:12], v[15:16], v[2:3]
	v_fma_f64 v[2:3], v[13:14], v[15:16], v[4:5]
	v_fma_f64 v[4:5], v[11:12], v[15:16], v[6:7]
	;; [unrolled: 1-line block ×3, first 2 shown]
	ds_write_b128 v60, v[0:3] offset:11200
	ds_write_b128 v10, v[4:7] offset:16800
	s_waitcnt lgkmcnt(0)
	s_barrier
	s_barrier
	ds_read_b128 v[0:3], v60 offset:16800
	ds_read_b128 v[4:7], v60 offset:19600
	;; [unrolled: 1-line block ×3, first 2 shown]
	ds_read_b128 v[12:15], v60
	ds_read_b128 v[16:19], v60 offset:5600
	ds_read_b128 v[20:23], v60 offset:8400
	;; [unrolled: 1-line block ×6, first 2 shown]
	s_waitcnt lgkmcnt(7)
	v_add_f64 v[0:1], v[8:9], -v[0:1]
	v_add_f64 v[2:3], v[10:11], -v[2:3]
	s_waitcnt lgkmcnt(3)
	v_add_f64 v[25:26], v[12:13], -v[25:26]
	v_add_f64 v[27:28], v[14:15], -v[27:28]
	;; [unrolled: 1-line block ×4, first 2 shown]
	s_waitcnt lgkmcnt(1)
	v_add_f64 v[33:34], v[20:21], -v[33:34]
	v_add_f64 v[35:36], v[22:23], -v[35:36]
	s_waitcnt lgkmcnt(0)
	v_add_f64 v[37:38], v[29:30], -v[37:38]
	v_add_f64 v[39:40], v[31:32], -v[39:40]
	v_fma_f64 v[8:9], v[8:9], 2.0, -v[0:1]
	v_fma_f64 v[10:11], v[10:11], 2.0, -v[2:3]
	s_barrier
	ds_write_b128 v43, v[0:3] offset:16
	v_fma_f64 v[0:1], v[12:13], 2.0, -v[25:26]
	v_fma_f64 v[2:3], v[14:15], 2.0, -v[27:28]
	;; [unrolled: 1-line block ×8, first 2 shown]
	ds_write_b128 v41, v[25:28] offset:16
	ds_write_b128 v42, v[4:7] offset:11216
	;; [unrolled: 1-line block ×4, first 2 shown]
	ds_write_b128 v43, v[8:11]
	ds_write_b128 v41, v[0:3]
	ds_write_b128 v42, v[12:15] offset:11200
	ds_write_b128 v41, v[16:19] offset:16800
	ds_write_b128 v42, v[20:23] offset:22400
	s_waitcnt lgkmcnt(0)
	s_barrier
	global_load_dwordx4 v[0:3], v44, s[8:9]
	global_load_dwordx4 v[4:7], v44, s[8:9] offset:16
	global_load_dwordx4 v[8:11], v44, s[8:9] offset:32
	;; [unrolled: 1-line block ×3, first 2 shown]
	v_and_b32_e32 v33, 1, v57
	v_lshlrev_b32_e32 v34, 6, v33
	global_load_dwordx4 v[16:19], v34, s[8:9]
	global_load_dwordx4 v[20:23], v34, s[8:9] offset:16
	global_load_dwordx4 v[25:28], v34, s[8:9] offset:32
	;; [unrolled: 1-line block ×3, first 2 shown]
	v_lshrrev_b32_e32 v34, 1, v56
	v_mul_u32_u24_e32 v34, 10, v34
	v_lshrrev_b32_e32 v35, 1, v57
	v_mul_lo_u16_sdwa v36, v56, s16 dst_sel:DWORD dst_unused:UNUSED_PAD src0_sel:BYTE_0 src1_sel:DWORD
	v_or_b32_e32 v24, v34, v24
	v_mul_u32_u24_e32 v34, 10, v35
	v_lshrrev_b16_e32 v55, 11, v36
	v_lshl_add_u32 v112, v24, 4, 0
	v_or_b32_e32 v24, v34, v33
	v_mul_lo_u16_e32 v33, 10, v55
	v_sub_u16_e32 v114, v56, v33
	ds_read_b128 v[33:36], v60 offset:5600
	ds_read_b128 v[37:40], v60 offset:8400
	;; [unrolled: 1-line block ×8, first 2 shown]
	ds_read_b128 v[74:77], v60
	ds_read_b128 v[78:81], v60 offset:2800
	v_lshl_add_u32 v113, v24, 4, 0
	s_waitcnt vmcnt(0) lgkmcnt(0)
	s_barrier
	s_mov_b32 s16, 0xcccd
	v_mul_f64 v[53:54], v[35:36], v[2:3]
	v_mul_f64 v[2:3], v[33:34], v[2:3]
	;; [unrolled: 1-line block ×16, first 2 shown]
	v_fma_f64 v[33:34], v[33:34], v[0:1], -v[53:54]
	v_fma_f64 v[0:1], v[35:36], v[0:1], v[2:3]
	v_fma_f64 v[2:3], v[41:42], v[4:5], -v[82:83]
	v_fma_f64 v[4:5], v[43:44], v[4:5], v[6:7]
	;; [unrolled: 2-line block ×8, first 2 shown]
	v_add_f64 v[30:31], v[33:34], -v[2:3]
	v_add_f64 v[35:36], v[10:11], -v[6:7]
	;; [unrolled: 1-line block ×4, first 2 shown]
	v_add_f64 v[41:42], v[2:3], v[6:7]
	v_add_f64 v[43:44], v[4:5], v[8:9]
	;; [unrolled: 1-line block ×6, first 2 shown]
	v_add_f64 v[45:46], v[0:1], -v[12:13]
	v_add_f64 v[0:1], v[4:5], -v[0:1]
	;; [unrolled: 1-line block ×3, first 2 shown]
	v_add_f64 v[88:89], v[18:19], v[22:23]
	v_add_f64 v[90:91], v[20:21], v[24:25]
	v_add_f64 v[49:50], v[33:34], -v[10:11]
	v_add_f64 v[32:33], v[2:3], -v[33:34]
	;; [unrolled: 1-line block ×3, first 2 shown]
	v_add_f64 v[100:101], v[14:15], v[26:27]
	v_add_f64 v[102:103], v[16:17], v[28:29]
	;; [unrolled: 1-line block ×4, first 2 shown]
	v_add_f64 v[72:73], v[14:15], -v[18:19]
	v_add_f64 v[82:83], v[26:27], -v[22:23]
	;; [unrolled: 1-line block ×9, first 2 shown]
	v_add_f64 v[30:31], v[30:31], v[35:36]
	v_add_f64 v[34:35], v[37:38], v[39:40]
	v_fma_f64 v[36:37], v[41:42], -0.5, v[74:75]
	v_fma_f64 v[38:39], v[43:44], -0.5, v[76:77]
	v_add_f64 v[47:48], v[4:5], -v[8:9]
	v_add_f64 v[51:52], v[2:3], -v[6:7]
	v_fma_f64 v[40:41], v[53:54], -0.5, v[74:75]
	v_fma_f64 v[42:43], v[62:63], -0.5, v[76:77]
	v_add_f64 v[2:3], v[64:65], v[2:3]
	v_add_f64 v[4:5], v[66:67], v[4:5]
	;; [unrolled: 1-line block ×3, first 2 shown]
	v_fma_f64 v[0:1], v[88:89], -0.5, v[78:79]
	v_fma_f64 v[66:67], v[90:91], -0.5, v[80:81]
	v_add_f64 v[94:95], v[20:21], -v[24:25]
	v_add_f64 v[98:99], v[18:19], -v[22:23]
	v_add_f64 v[32:33], v[32:33], v[68:69]
	v_fma_f64 v[68:69], v[100:101], -0.5, v[78:79]
	v_fma_f64 v[70:71], v[102:103], -0.5, v[80:81]
	v_add_f64 v[18:19], v[104:105], v[18:19]
	v_add_f64 v[20:21], v[106:107], v[20:21]
	;; [unrolled: 1-line block ×5, first 2 shown]
	v_fma_f64 v[14:15], v[45:46], s[10:11], v[36:37]
	v_fma_f64 v[16:17], v[49:50], s[14:15], v[38:39]
	;; [unrolled: 1-line block ×3, first 2 shown]
	v_add_f64 v[2:3], v[2:3], v[6:7]
	v_add_f64 v[4:5], v[4:5], v[8:9]
	v_fma_f64 v[6:7], v[47:48], s[14:15], v[40:41]
	v_fma_f64 v[8:9], v[47:48], s[10:11], v[40:41]
	v_fma_f64 v[40:41], v[51:52], s[10:11], v[42:43]
	v_fma_f64 v[42:43], v[51:52], s[14:15], v[42:43]
	v_fma_f64 v[38:39], v[49:50], s[10:11], v[38:39]
	v_add_f64 v[86:87], v[28:29], -v[24:25]
	v_fma_f64 v[76:77], v[92:93], s[10:11], v[0:1]
	v_fma_f64 v[78:79], v[96:97], s[14:15], v[66:67]
	v_add_f64 v[18:19], v[18:19], v[22:23]
	v_add_f64 v[20:21], v[20:21], v[24:25]
	v_fma_f64 v[22:23], v[94:95], s[14:15], v[68:69]
	v_fma_f64 v[24:25], v[94:95], s[10:11], v[68:69]
	;; [unrolled: 1-line block ×14, first 2 shown]
	v_add_f64 v[64:65], v[84:85], v[86:87]
	v_add_f64 v[0:1], v[2:3], v[10:11]
	;; [unrolled: 1-line block ×3, first 2 shown]
	v_fma_f64 v[49:50], v[94:95], s[4:5], v[76:77]
	v_fma_f64 v[51:52], v[98:99], s[6:7], v[78:79]
	v_add_f64 v[6:7], v[20:21], v[28:29]
	v_fma_f64 v[28:29], v[92:93], s[4:5], v[22:23]
	v_fma_f64 v[68:69], v[96:97], s[6:7], v[68:69]
	;; [unrolled: 1-line block ×8, first 2 shown]
	v_add_f64 v[4:5], v[18:19], v[26:27]
	v_fma_f64 v[16:17], v[32:33], s[12:13], v[47:48]
	v_fma_f64 v[18:19], v[53:54], s[12:13], v[40:41]
	;; [unrolled: 1-line block ×6, first 2 shown]
	ds_write_b128 v112, v[0:3]
	v_fma_f64 v[0:1], v[62:63], s[12:13], v[49:50]
	v_fma_f64 v[2:3], v[64:65], s[12:13], v[51:52]
	;; [unrolled: 1-line block ×8, first 2 shown]
	ds_write_b128 v112, v[8:11] offset:32
	ds_write_b128 v112, v[16:19] offset:64
	;; [unrolled: 1-line block ×4, first 2 shown]
	ds_write_b128 v113, v[4:7]
	ds_write_b128 v113, v[0:3] offset:32
	ds_write_b128 v113, v[28:31] offset:64
	;; [unrolled: 1-line block ×4, first 2 shown]
	v_lshlrev_b32_sdwa v16, v61, v114 dst_sel:DWORD dst_unused:UNUSED_PAD src0_sel:DWORD src1_sel:BYTE_0
	s_waitcnt lgkmcnt(0)
	s_barrier
	global_load_dwordx4 v[0:3], v16, s[8:9] offset:128
	global_load_dwordx4 v[4:7], v16, s[8:9] offset:144
	;; [unrolled: 1-line block ×4, first 2 shown]
	v_mul_u32_u24_sdwa v16, v57, s16 dst_sel:DWORD dst_unused:UNUSED_PAD src0_sel:WORD_0 src1_sel:DWORD
	v_lshrrev_b32_e32 v99, 19, v16
	v_mul_lo_u16_e32 v16, 10, v99
	v_sub_u16_e32 v100, v57, v16
	v_lshlrev_b32_e32 v32, 6, v100
	global_load_dwordx4 v[16:19], v32, s[8:9] offset:128
	global_load_dwordx4 v[20:23], v32, s[8:9] offset:144
	;; [unrolled: 1-line block ×4, first 2 shown]
	v_mov_b32_e32 v62, 4
	v_mul_u32_u24_e32 v32, 0x320, v55
	v_lshlrev_b32_sdwa v33, v62, v114 dst_sel:DWORD dst_unused:UNUSED_PAD src0_sel:DWORD src1_sel:BYTE_0
	v_add3_u32 v101, 0, v32, v33
	ds_read_b128 v[32:35], v60 offset:5600
	ds_read_b128 v[36:39], v60 offset:8400
	;; [unrolled: 1-line block ×8, first 2 shown]
	ds_read_b128 v[71:74], v60
	ds_read_b128 v[75:78], v60 offset:2800
	s_waitcnt vmcnt(0) lgkmcnt(0)
	s_barrier
	v_mul_f64 v[79:80], v[34:35], v[2:3]
	v_mul_f64 v[2:3], v[32:33], v[2:3]
	;; [unrolled: 1-line block ×16, first 2 shown]
	v_fma_f64 v[32:33], v[32:33], v[0:1], -v[79:80]
	v_fma_f64 v[0:1], v[34:35], v[0:1], v[2:3]
	v_fma_f64 v[2:3], v[40:41], v[4:5], -v[81:82]
	v_fma_f64 v[4:5], v[42:43], v[4:5], v[6:7]
	;; [unrolled: 2-line block ×8, first 2 shown]
	v_add_f64 v[14:15], v[32:33], -v[2:3]
	v_add_f64 v[16:17], v[10:11], -v[6:7]
	;; [unrolled: 1-line block ×4, first 2 shown]
	v_add_f64 v[40:41], v[2:3], v[6:7]
	v_add_f64 v[42:43], v[4:5], v[8:9]
	;; [unrolled: 1-line block ×6, first 2 shown]
	v_add_f64 v[44:45], v[0:1], -v[12:13]
	v_add_f64 v[48:49], v[32:33], -v[10:11]
	;; [unrolled: 1-line block ×4, first 2 shown]
	v_add_f64 v[16:17], v[14:15], v[16:17]
	v_add_f64 v[18:19], v[18:19], v[30:31]
	v_fma_f64 v[14:15], v[40:41], -0.5, v[71:72]
	v_fma_f64 v[30:31], v[42:43], -0.5, v[73:74]
	v_add_f64 v[46:47], v[4:5], -v[8:9]
	v_add_f64 v[50:51], v[2:3], -v[6:7]
	;; [unrolled: 1-line block ×3, first 2 shown]
	v_fma_f64 v[40:41], v[52:53], -0.5, v[71:72]
	v_fma_f64 v[42:43], v[54:55], -0.5, v[73:74]
	v_add_f64 v[2:3], v[63:64], v[2:3]
	v_add_f64 v[4:5], v[65:66], v[4:5]
	v_add_f64 v[67:68], v[6:7], -v[10:11]
	v_add_f64 v[52:53], v[0:1], v[69:70]
	v_fma_f64 v[0:1], v[44:45], s[10:11], v[14:15]
	v_fma_f64 v[65:66], v[48:49], s[14:15], v[30:31]
	;; [unrolled: 1-line block ×4, first 2 shown]
	v_add_f64 v[2:3], v[2:3], v[6:7]
	v_add_f64 v[4:5], v[4:5], v[8:9]
	v_fma_f64 v[6:7], v[46:47], s[14:15], v[40:41]
	v_fma_f64 v[8:9], v[50:51], s[10:11], v[42:43]
	;; [unrolled: 1-line block ×4, first 2 shown]
	v_add_f64 v[32:33], v[32:33], v[67:68]
	v_fma_f64 v[67:68], v[46:47], s[4:5], v[0:1]
	v_fma_f64 v[65:66], v[50:51], s[6:7], v[65:66]
	v_add_f64 v[93:94], v[36:37], v[28:29]
	v_fma_f64 v[46:47], v[46:47], s[6:7], v[14:15]
	v_fma_f64 v[30:31], v[50:51], s[4:5], v[30:31]
	;; [unrolled: 1-line block ×6, first 2 shown]
	v_add_f64 v[87:88], v[34:35], v[26:27]
	v_add_f64 v[0:1], v[2:3], v[10:11]
	;; [unrolled: 1-line block ×3, first 2 shown]
	v_fma_f64 v[4:5], v[16:17], s[12:13], v[67:68]
	v_fma_f64 v[6:7], v[18:19], s[12:13], v[65:66]
	v_add_f64 v[95:96], v[38:39], -v[22:23]
	v_fma_f64 v[63:64], v[93:94], -0.5, v[77:78]
	v_fma_f64 v[8:9], v[32:33], s[12:13], v[14:15]
	v_fma_f64 v[10:11], v[52:53], s[12:13], v[50:51]
	;; [unrolled: 1-line block ×6, first 2 shown]
	v_add_f64 v[89:90], v[20:21], -v[24:25]
	v_fma_f64 v[54:55], v[87:88], -0.5, v[75:76]
	ds_write_b128 v101, v[0:3]
	ds_write_b128 v101, v[4:7] offset:160
	ds_write_b128 v101, v[8:11] offset:320
	;; [unrolled: 1-line block ×3, first 2 shown]
	v_add_f64 v[2:3], v[38:39], v[22:23]
	v_add_f64 v[12:13], v[20:21], v[24:25]
	v_add_f64 v[83:84], v[20:21], -v[36:37]
	v_add_f64 v[85:86], v[24:25], -v[28:29]
	;; [unrolled: 1-line block ×3, first 2 shown]
	v_fma_f64 v[40:41], v[95:96], s[10:11], v[63:64]
	ds_write_b128 v101, v[16:19] offset:640
	v_add_f64 v[14:15], v[75:76], v[34:35]
	v_add_f64 v[18:19], v[77:78], v[36:37]
	v_add_f64 v[91:92], v[36:37], -v[28:29]
	v_fma_f64 v[32:33], v[89:90], s[14:15], v[54:55]
	v_fma_f64 v[16:17], v[2:3], -0.5, v[75:76]
	v_fma_f64 v[12:13], v[12:13], -0.5, v[77:78]
	v_add_f64 v[6:7], v[83:84], v[85:86]
	v_fma_f64 v[8:9], v[97:98], s[6:7], v[40:41]
	v_add_f64 v[14:15], v[14:15], v[38:39]
	v_add_f64 v[18:19], v[18:19], v[20:21]
	v_add_f64 v[79:80], v[38:39], -v[34:35]
	v_fma_f64 v[0:1], v[91:92], s[4:5], v[32:33]
	v_add_f64 v[30:31], v[34:35], -v[38:39]
	v_fma_f64 v[32:33], v[91:92], s[10:11], v[16:17]
	v_add_f64 v[34:35], v[26:27], -v[22:23]
	v_add_f64 v[20:21], v[36:37], -v[20:21]
	;; [unrolled: 1-line block ×3, first 2 shown]
	v_fma_f64 v[38:39], v[97:98], s[14:15], v[12:13]
	v_add_f64 v[81:82], v[22:23], -v[26:27]
	v_fma_f64 v[10:11], v[89:90], s[10:11], v[54:55]
	v_fma_f64 v[2:3], v[6:7], s[12:13], v[8:9]
	;; [unrolled: 1-line block ×5, first 2 shown]
	v_add_f64 v[14:15], v[14:15], v[22:23]
	v_add_f64 v[18:19], v[18:19], v[24:25]
	;; [unrolled: 1-line block ×3, first 2 shown]
	v_fma_f64 v[24:25], v[89:90], s[4:5], v[32:33]
	v_add_f64 v[20:21], v[20:21], v[36:37]
	v_fma_f64 v[30:31], v[95:96], s[6:7], v[38:39]
	v_add_f64 v[4:5], v[79:80], v[81:82]
	v_fma_f64 v[10:11], v[91:92], s[6:7], v[10:11]
	v_fma_f64 v[8:9], v[97:98], s[4:5], v[8:9]
	;; [unrolled: 1-line block ×4, first 2 shown]
	v_add_f64 v[12:13], v[14:15], v[26:27]
	v_add_f64 v[14:15], v[18:19], v[28:29]
	v_fma_f64 v[16:17], v[22:23], s[12:13], v[24:25]
	v_fma_f64 v[18:19], v[20:21], s[12:13], v[30:31]
	;; [unrolled: 1-line block ×7, first 2 shown]
	v_mul_u32_u24_e32 v20, 0x320, v99
	v_lshlrev_b32_e32 v21, 4, v100
	v_add3_u32 v20, 0, v20, v21
	ds_write_b128 v20, v[12:15]
	ds_write_b128 v20, v[16:19] offset:160
	ds_write_b128 v20, v[0:3] offset:320
	;; [unrolled: 1-line block ×4, first 2 shown]
	s_waitcnt lgkmcnt(0)
	s_barrier
	ds_read_b128 v[28:31], v60
	ds_read_b128 v[48:51], v60 offset:4000
	ds_read_b128 v[44:47], v60 offset:8000
	;; [unrolled: 1-line block ×6, first 2 shown]
	s_movk_i32 s4, 0x4b
	v_cmp_gt_u32_e32 vcc, s4, v56
                                        ; implicit-def: $vgpr26_vgpr27
                                        ; implicit-def: $vgpr22_vgpr23
                                        ; implicit-def: $vgpr18_vgpr19
                                        ; implicit-def: $vgpr14_vgpr15
	s_and_saveexec_b64 s[4:5], vcc
	s_cbranch_execz .LBB0_19
; %bb.18:
	ds_read_b128 v[0:3], v60 offset:2800
	ds_read_b128 v[4:7], v60 offset:6800
	;; [unrolled: 1-line block ×7, first 2 shown]
.LBB0_19:
	s_or_b64 exec, exec, s[4:5]
	v_mov_b32_e32 v63, 41
	v_mul_lo_u16_sdwa v64, v56, v63 dst_sel:DWORD dst_unused:UNUSED_PAD src0_sel:BYTE_0 src1_sel:DWORD
	v_lshrrev_b16_e32 v88, 11, v64
	v_mul_lo_u16_e32 v64, 50, v88
	v_sub_u16_e32 v89, v56, v64
	v_mul_u32_u24_sdwa v61, v89, v61 dst_sel:DWORD dst_unused:UNUSED_PAD src0_sel:BYTE_0 src1_sel:DWORD
	v_lshlrev_b32_e32 v61, 4, v61
	global_load_dwordx4 v[64:67], v61, s[8:9] offset:768
	global_load_dwordx4 v[68:71], v61, s[8:9] offset:784
	;; [unrolled: 1-line block ×6, first 2 shown]
	v_mul_u32_u24_e32 v61, 0x15e0, v88
	v_lshlrev_b32_sdwa v62, v62, v89 dst_sel:DWORD dst_unused:UNUSED_PAD src0_sel:DWORD src1_sel:BYTE_0
	v_add3_u32 v98, 0, v61, v62
	s_mov_b32 s4, 0x37e14327
	s_mov_b32 s6, 0x36b3c0b5
	;; [unrolled: 1-line block ×20, first 2 shown]
	s_waitcnt vmcnt(0) lgkmcnt(0)
	s_barrier
	v_mul_f64 v[61:62], v[50:51], v[66:67]
	v_mul_f64 v[66:67], v[48:49], v[66:67]
	;; [unrolled: 1-line block ×12, first 2 shown]
	v_fma_f64 v[48:49], v[48:49], v[64:65], -v[61:62]
	v_fma_f64 v[50:51], v[50:51], v[64:65], v[66:67]
	v_fma_f64 v[44:45], v[44:45], v[68:69], -v[88:89]
	v_fma_f64 v[46:47], v[46:47], v[68:69], v[70:71]
	;; [unrolled: 2-line block ×6, first 2 shown]
	v_add_f64 v[61:62], v[48:49], v[52:53]
	v_add_f64 v[64:65], v[50:51], v[54:55]
	v_add_f64 v[48:49], v[48:49], -v[52:53]
	v_add_f64 v[50:51], v[50:51], -v[54:55]
	v_add_f64 v[52:53], v[44:45], v[40:41]
	v_add_f64 v[54:55], v[46:47], v[42:43]
	v_add_f64 v[40:41], v[44:45], -v[40:41]
	v_add_f64 v[42:43], v[46:47], -v[42:43]
	v_add_f64 v[44:45], v[36:37], v[32:33]
	v_add_f64 v[46:47], v[38:39], v[34:35]
	v_add_f64 v[32:33], v[32:33], -v[36:37]
	v_add_f64 v[34:35], v[34:35], -v[38:39]
	v_add_f64 v[36:37], v[52:53], v[61:62]
	v_add_f64 v[38:39], v[54:55], v[64:65]
	v_add_f64 v[66:67], v[52:53], -v[61:62]
	v_add_f64 v[68:69], v[54:55], -v[64:65]
	v_add_f64 v[61:62], v[61:62], -v[44:45]
	v_add_f64 v[64:65], v[64:65], -v[46:47]
	v_add_f64 v[52:53], v[44:45], -v[52:53]
	v_add_f64 v[54:55], v[46:47], -v[54:55]
	v_add_f64 v[70:71], v[32:33], v[40:41]
	v_add_f64 v[72:73], v[34:35], v[42:43]
	v_add_f64 v[74:75], v[32:33], -v[40:41]
	v_add_f64 v[76:77], v[34:35], -v[42:43]
	v_add_f64 v[36:37], v[44:45], v[36:37]
	v_add_f64 v[38:39], v[46:47], v[38:39]
	v_add_f64 v[40:41], v[40:41], -v[48:49]
	v_add_f64 v[42:43], v[42:43], -v[50:51]
	;; [unrolled: 1-line block ×4, first 2 shown]
	v_add_f64 v[44:45], v[70:71], v[48:49]
	v_add_f64 v[46:47], v[72:73], v[50:51]
	v_mul_f64 v[48:49], v[61:62], s[4:5]
	v_mul_f64 v[50:51], v[64:65], s[4:5]
	;; [unrolled: 1-line block ×6, first 2 shown]
	v_add_f64 v[28:29], v[28:29], v[36:37]
	v_add_f64 v[30:31], v[30:31], v[38:39]
	v_mul_f64 v[74:75], v[40:41], s[10:11]
	v_mul_f64 v[76:77], v[42:43], s[10:11]
	v_fma_f64 v[52:53], v[52:53], s[6:7], v[48:49]
	v_fma_f64 v[54:55], v[54:55], s[6:7], v[50:51]
	v_fma_f64 v[61:62], v[66:67], s[16:17], -v[61:62]
	v_fma_f64 v[64:65], v[68:69], s[16:17], -v[64:65]
	;; [unrolled: 1-line block ×4, first 2 shown]
	v_fma_f64 v[66:67], v[32:33], s[20:21], v[70:71]
	v_fma_f64 v[68:69], v[34:35], s[20:21], v[72:73]
	;; [unrolled: 1-line block ×4, first 2 shown]
	v_fma_f64 v[32:33], v[32:33], s[24:25], -v[74:75]
	v_fma_f64 v[34:35], v[34:35], s[24:25], -v[76:77]
	v_fma_f64 v[40:41], v[40:41], s[10:11], -v[70:71]
	v_fma_f64 v[42:43], v[42:43], s[10:11], -v[72:73]
	v_fma_f64 v[66:67], v[44:45], s[22:23], v[66:67]
	v_fma_f64 v[68:69], v[46:47], s[22:23], v[68:69]
	v_add_f64 v[52:53], v[52:53], v[36:37]
	v_add_f64 v[54:55], v[54:55], v[38:39]
	v_fma_f64 v[74:75], v[44:45], s[22:23], v[32:33]
	v_fma_f64 v[76:77], v[46:47], s[22:23], v[34:35]
	v_add_f64 v[48:49], v[48:49], v[36:37]
	v_add_f64 v[50:51], v[50:51], v[38:39]
	;; [unrolled: 4-line block ×3, first 2 shown]
	v_add_f64 v[32:33], v[68:69], v[52:53]
	v_add_f64 v[34:35], v[54:55], -v[66:67]
	v_add_f64 v[36:37], v[76:77], v[48:49]
	v_add_f64 v[38:39], v[50:51], -v[74:75]
	v_add_f64 v[48:49], v[48:49], -v[76:77]
	v_add_f64 v[50:51], v[74:75], v[50:51]
	v_add_f64 v[40:41], v[44:45], -v[72:73]
	v_add_f64 v[42:43], v[70:71], v[46:47]
	v_add_f64 v[44:45], v[72:73], v[44:45]
	v_add_f64 v[46:47], v[46:47], -v[70:71]
	v_add_f64 v[52:53], v[52:53], -v[68:69]
	v_add_f64 v[54:55], v[66:67], v[54:55]
	ds_write_b128 v98, v[28:31]
	ds_write_b128 v98, v[32:35] offset:800
	ds_write_b128 v98, v[36:39] offset:1600
	;; [unrolled: 1-line block ×6, first 2 shown]
	s_and_saveexec_b64 s[26:27], vcc
	s_cbranch_execz .LBB0_21
; %bb.20:
	v_lshrrev_b16_e32 v28, 1, v57
	v_mul_u32_u24_e32 v28, 0x147b, v28
	v_lshrrev_b32_e32 v28, 17, v28
	v_mul_lo_u16_e32 v28, 50, v28
	v_sub_u16_e32 v69, v57, v28
	v_mul_u32_u24_e32 v28, 6, v69
	v_lshlrev_b32_e32 v52, 4, v28
	global_load_dwordx4 v[28:31], v52, s[8:9] offset:816
	global_load_dwordx4 v[32:35], v52, s[8:9] offset:800
	;; [unrolled: 1-line block ×6, first 2 shown]
	v_mul_lo_u16_sdwa v52, v57, v63 dst_sel:DWORD dst_unused:UNUSED_PAD src0_sel:BYTE_0 src1_sel:DWORD
	v_lshrrev_b16_e32 v70, 11, v52
	s_waitcnt vmcnt(5)
	v_mul_f64 v[52:53], v[18:19], v[30:31]
	s_waitcnt vmcnt(4)
	v_mul_f64 v[54:55], v[14:15], v[34:35]
	;; [unrolled: 2-line block ×6, first 2 shown]
	v_mul_f64 v[38:39], v[8:9], v[38:39]
	v_mul_f64 v[42:43], v[20:21], v[42:43]
	;; [unrolled: 1-line block ×6, first 2 shown]
	v_fma_f64 v[8:9], v[8:9], v[36:37], -v[61:62]
	v_fma_f64 v[20:21], v[20:21], v[40:41], -v[63:64]
	;; [unrolled: 1-line block ×4, first 2 shown]
	v_fma_f64 v[10:11], v[10:11], v[36:37], v[38:39]
	v_fma_f64 v[22:23], v[22:23], v[40:41], v[42:43]
	;; [unrolled: 1-line block ×4, first 2 shown]
	v_fma_f64 v[16:17], v[16:17], v[28:29], -v[52:53]
	v_fma_f64 v[12:13], v[12:13], v[32:33], -v[54:55]
	v_fma_f64 v[14:15], v[14:15], v[32:33], v[34:35]
	v_fma_f64 v[18:19], v[18:19], v[28:29], v[30:31]
	v_add_f64 v[30:31], v[8:9], -v[20:21]
	v_add_f64 v[32:33], v[4:5], -v[24:25]
	v_add_f64 v[36:37], v[10:11], v[22:23]
	v_add_f64 v[38:39], v[6:7], v[26:27]
	;; [unrolled: 1-line block ×4, first 2 shown]
	v_add_f64 v[28:29], v[16:17], -v[12:13]
	v_add_f64 v[34:35], v[14:15], v[18:19]
	v_add_f64 v[12:13], v[12:13], v[16:17]
	v_add_f64 v[14:15], v[18:19], -v[14:15]
	v_add_f64 v[10:11], v[10:11], -v[22:23]
	;; [unrolled: 1-line block ×3, first 2 shown]
	v_add_f64 v[26:27], v[36:37], v[38:39]
	v_add_f64 v[42:43], v[8:9], v[4:5]
	;; [unrolled: 1-line block ×3, first 2 shown]
	v_add_f64 v[18:19], v[28:29], -v[30:31]
	v_add_f64 v[20:21], v[32:33], -v[28:29]
	;; [unrolled: 1-line block ×6, first 2 shown]
	v_add_f64 v[26:27], v[34:35], v[26:27]
	v_add_f64 v[12:13], v[12:13], v[42:43]
	v_add_f64 v[30:31], v[30:31], -v[32:33]
	v_add_f64 v[4:5], v[8:9], -v[4:5]
	v_add_f64 v[8:9], v[10:11], -v[6:7]
	v_add_f64 v[22:23], v[34:35], -v[36:37]
	v_add_f64 v[44:45], v[14:15], v[10:11]
	v_add_f64 v[14:15], v[6:7], -v[14:15]
	v_add_f64 v[36:37], v[36:37], -v[38:39]
	v_add_f64 v[10:11], v[16:17], v[32:33]
	v_mul_f64 v[16:17], v[18:19], s[14:15]
	v_mul_f64 v[24:25], v[24:25], s[4:5]
	;; [unrolled: 1-line block ×4, first 2 shown]
	v_add_f64 v[2:3], v[2:3], v[26:27]
	v_add_f64 v[0:1], v[0:1], v[12:13]
	v_mul_f64 v[40:41], v[30:31], s[10:11]
	v_mul_f64 v[42:43], v[8:9], s[10:11]
	;; [unrolled: 1-line block ×4, first 2 shown]
	v_add_f64 v[6:7], v[44:45], v[6:7]
	v_fma_f64 v[44:45], v[20:21], s[20:21], v[16:17]
	v_fma_f64 v[22:23], v[22:23], s[6:7], v[24:25]
	;; [unrolled: 1-line block ×6, first 2 shown]
	v_fma_f64 v[20:21], v[20:21], s[24:25], -v[40:41]
	v_fma_f64 v[24:25], v[36:37], s[18:19], -v[24:25]
	v_fma_f64 v[34:35], v[4:5], s[18:19], -v[34:35]
	v_fma_f64 v[14:15], v[14:15], s[24:25], -v[42:43]
	v_fma_f64 v[18:19], v[36:37], s[16:17], -v[18:19]
	v_fma_f64 v[16:17], v[30:31], s[10:11], -v[16:17]
	v_fma_f64 v[8:9], v[8:9], s[10:11], -v[38:39]
	v_fma_f64 v[4:5], v[4:5], s[16:17], -v[32:33]
	v_fma_f64 v[30:31], v[10:11], s[22:23], v[44:45]
	v_fma_f64 v[32:33], v[6:7], s[22:23], v[46:47]
	v_add_f64 v[36:37], v[22:23], v[26:27]
	v_add_f64 v[28:29], v[28:29], v[12:13]
	v_fma_f64 v[20:21], v[10:11], s[22:23], v[20:21]
	v_add_f64 v[22:23], v[24:25], v[26:27]
	v_fma_f64 v[38:39], v[6:7], s[22:23], v[14:15]
	;; [unrolled: 2-line block ×4, first 2 shown]
	v_add_f64 v[4:5], v[4:5], v[12:13]
	v_add_f64 v[26:27], v[36:37], -v[30:31]
	v_add_f64 v[24:25], v[32:33], v[28:29]
	v_add_f64 v[10:11], v[20:21], v[22:23]
	v_add_f64 v[22:23], v[22:23], -v[20:21]
	v_add_f64 v[20:21], v[38:39], v[34:35]
	v_add_f64 v[14:15], v[18:19], -v[16:17]
	;; [unrolled: 2-line block ×4, first 2 shown]
	v_mul_u32_u24_e32 v48, 0x15e0, v70
	v_lshlrev_b32_e32 v49, 4, v69
	v_add_f64 v[6:7], v[30:31], v[36:37]
	v_add_f64 v[4:5], v[28:29], -v[32:33]
	v_add3_u32 v28, 0, v48, v49
	ds_write_b128 v28, v[0:3]
	ds_write_b128 v28, v[24:27] offset:800
	ds_write_b128 v28, v[20:23] offset:1600
	;; [unrolled: 1-line block ×6, first 2 shown]
.LBB0_21:
	s_or_b64 exec, exec, s[26:27]
	v_lshlrev_b32_e32 v0, 2, v56
	v_mov_b32_e32 v1, 0
	v_lshlrev_b64 v[2:3], 4, v[0:1]
	v_mov_b32_e32 v22, s9
	v_add_co_u32_e32 v0, vcc, s8, v2
	v_addc_co_u32_e32 v2, vcc, v22, v3, vcc
	s_movk_i32 s4, 0x15c0
	v_add_co_u32_e32 v18, vcc, s4, v0
	v_addc_co_u32_e32 v19, vcc, 0, v2, vcc
	s_movk_i32 s5, 0x1000
	v_add_co_u32_e32 v20, vcc, s5, v0
	v_addc_co_u32_e32 v21, vcc, 0, v2, vcc
	v_lshlrev_b32_e32 v0, 2, v57
	s_waitcnt lgkmcnt(0)
	s_barrier
	global_load_dwordx4 v[2:5], v[20:21], off offset:1472
	global_load_dwordx4 v[6:9], v[18:19], off offset:48
	;; [unrolled: 1-line block ×4, first 2 shown]
	v_lshlrev_b64 v[18:19], 4, v[0:1]
	s_mov_b32 s13, 0xbfee6f0e
	v_add_co_u32_e32 v0, vcc, s8, v18
	v_addc_co_u32_e32 v22, vcc, v22, v19, vcc
	v_add_co_u32_e32 v18, vcc, s5, v0
	v_addc_co_u32_e32 v19, vcc, 0, v22, vcc
	;; [unrolled: 2-line block ×3, first 2 shown]
	global_load_dwordx4 v[18:21], v[18:19], off offset:1472
	s_nop 0
	global_load_dwordx4 v[22:25], v[34:35], off offset:16
	global_load_dwordx4 v[26:29], v[34:35], off offset:32
	;; [unrolled: 1-line block ×3, first 2 shown]
	ds_read_b128 v[34:37], v60
	ds_read_b128 v[38:41], v60 offset:2800
	ds_read_b128 v[42:45], v60 offset:5600
	ds_read_b128 v[46:49], v60 offset:8400
	ds_read_b128 v[50:53], v60 offset:11200
	ds_read_b128 v[61:64], v60 offset:14000
	ds_read_b128 v[65:68], v60 offset:16800
	ds_read_b128 v[69:72], v60 offset:19600
	ds_read_b128 v[73:76], v60 offset:22400
	ds_read_b128 v[77:80], v60 offset:25200
	s_mov_b32 s8, 0x134454ff
	s_mov_b32 s9, 0x3fee6f0e
	;; [unrolled: 1-line block ×9, first 2 shown]
	s_waitcnt vmcnt(0) lgkmcnt(0)
	s_barrier
	v_mul_f64 v[54:55], v[44:45], v[4:5]
	v_mul_f64 v[4:5], v[42:43], v[4:5]
	;; [unrolled: 1-line block ×8, first 2 shown]
	v_fma_f64 v[42:43], v[42:43], v[2:3], -v[54:55]
	v_fma_f64 v[44:45], v[44:45], v[2:3], v[4:5]
	v_fma_f64 v[4:5], v[65:66], v[10:11], -v[83:84]
	v_fma_f64 v[2:3], v[50:51], v[14:15], -v[81:82]
	v_fma_f64 v[12:13], v[67:68], v[10:11], v[12:13]
	v_fma_f64 v[10:11], v[73:74], v[6:7], -v[85:86]
	v_fma_f64 v[16:17], v[52:53], v[14:15], v[16:17]
	v_fma_f64 v[8:9], v[75:76], v[6:7], v[8:9]
	v_add_f64 v[6:7], v[34:35], v[42:43]
	v_mul_f64 v[89:90], v[63:64], v[24:25]
	v_mul_f64 v[87:88], v[48:49], v[20:21]
	;; [unrolled: 1-line block ×8, first 2 shown]
	v_add_f64 v[14:15], v[2:3], v[4:5]
	v_fma_f64 v[46:47], v[46:47], v[18:19], -v[87:88]
	v_fma_f64 v[54:55], v[77:78], v[30:31], -v[93:94]
	v_fma_f64 v[32:33], v[79:80], v[30:31], v[32:33]
	v_add_f64 v[30:31], v[42:43], v[10:11]
	v_fma_f64 v[48:49], v[48:49], v[18:19], v[20:21]
	v_fma_f64 v[50:51], v[61:62], v[22:23], -v[89:90]
	v_fma_f64 v[24:25], v[63:64], v[22:23], v[24:25]
	v_fma_f64 v[52:53], v[69:70], v[26:27], -v[91:92]
	v_fma_f64 v[28:29], v[71:72], v[26:27], v[28:29]
	v_add_f64 v[18:19], v[44:45], -v[8:9]
	v_add_f64 v[20:21], v[16:17], -v[12:13]
	;; [unrolled: 1-line block ×4, first 2 shown]
	v_fma_f64 v[14:15], v[14:15], -0.5, v[34:35]
	v_fma_f64 v[30:31], v[30:31], -0.5, v[34:35]
	v_add_f64 v[61:62], v[2:3], -v[42:43]
	v_add_f64 v[63:64], v[4:5], -v[10:11]
	v_add_f64 v[65:66], v[36:37], v[44:45]
	v_add_f64 v[67:68], v[16:17], v[12:13]
	v_add_f64 v[69:70], v[2:3], -v[4:5]
	v_add_f64 v[2:3], v[6:7], v[2:3]
	v_add_f64 v[22:23], v[22:23], v[26:27]
	v_fma_f64 v[6:7], v[18:19], s[8:9], v[14:15]
	v_fma_f64 v[14:15], v[18:19], s[12:13], v[14:15]
	;; [unrolled: 1-line block ×4, first 2 shown]
	v_add_f64 v[61:62], v[61:62], v[63:64]
	v_add_f64 v[63:64], v[65:66], v[16:17]
	v_add_f64 v[42:43], v[42:43], -v[10:11]
	v_add_f64 v[73:74], v[44:45], v[8:9]
	v_fma_f64 v[65:66], v[67:68], -0.5, v[36:37]
	v_add_f64 v[2:3], v[2:3], v[4:5]
	v_fma_f64 v[4:5], v[20:21], s[4:5], v[6:7]
	v_fma_f64 v[14:15], v[20:21], s[10:11], v[14:15]
	;; [unrolled: 1-line block ×4, first 2 shown]
	v_add_f64 v[26:27], v[50:51], v[52:53]
	v_add_f64 v[30:31], v[63:64], v[12:13]
	v_add_f64 v[34:35], v[44:45], -v[16:17]
	v_add_f64 v[71:72], v[8:9], -v[12:13]
	v_fma_f64 v[63:64], v[42:43], s[12:13], v[65:66]
	v_add_f64 v[2:3], v[2:3], v[10:11]
	v_fma_f64 v[10:11], v[22:23], s[6:7], v[14:15]
	v_fma_f64 v[14:15], v[61:62], s[6:7], v[20:21]
	v_fma_f64 v[20:21], v[73:74], -0.5, v[36:37]
	v_fma_f64 v[6:7], v[22:23], s[6:7], v[4:5]
	v_fma_f64 v[18:19], v[61:62], s[6:7], v[18:19]
	v_add_f64 v[4:5], v[30:31], v[8:9]
	v_add_f64 v[30:31], v[38:39], v[46:47]
	v_fma_f64 v[36:37], v[26:27], -0.5, v[38:39]
	v_add_f64 v[61:62], v[48:49], -v[32:33]
	v_add_f64 v[26:27], v[34:35], v[71:72]
	v_fma_f64 v[34:35], v[42:43], s[8:9], v[65:66]
	v_fma_f64 v[22:23], v[69:70], s[10:11], v[63:64]
	;; [unrolled: 1-line block ×3, first 2 shown]
	v_add_f64 v[16:17], v[16:17], -v[44:45]
	v_add_f64 v[8:9], v[12:13], -v[8:9]
	v_fma_f64 v[12:13], v[69:70], s[12:13], v[20:21]
	v_add_f64 v[20:21], v[30:31], v[50:51]
	v_fma_f64 v[30:31], v[61:62], s[8:9], v[36:37]
	v_add_f64 v[44:45], v[24:25], -v[28:29]
	v_add_f64 v[65:66], v[46:47], -v[50:51]
	;; [unrolled: 1-line block ×3, first 2 shown]
	v_fma_f64 v[34:35], v[69:70], s[4:5], v[34:35]
	v_fma_f64 v[63:64], v[42:43], s[10:11], v[63:64]
	v_add_f64 v[71:72], v[16:17], v[8:9]
	v_add_f64 v[69:70], v[46:47], v[54:55]
	v_fma_f64 v[42:43], v[42:43], s[4:5], v[12:13]
	v_fma_f64 v[30:31], v[44:45], s[4:5], v[30:31]
	;; [unrolled: 1-line block ×3, first 2 shown]
	v_add_f64 v[65:66], v[65:66], v[67:68]
	v_fma_f64 v[12:13], v[26:27], s[6:7], v[34:35]
	v_add_f64 v[34:35], v[24:25], v[28:29]
	v_fma_f64 v[16:17], v[71:72], s[6:7], v[63:64]
	v_add_f64 v[63:64], v[48:49], v[32:33]
	v_fma_f64 v[38:39], v[69:70], -0.5, v[38:39]
	v_add_f64 v[69:70], v[40:41], v[48:49]
	v_add_f64 v[73:74], v[20:21], v[52:53]
	v_fma_f64 v[26:27], v[65:66], s[6:7], v[30:31]
	v_fma_f64 v[30:31], v[61:62], s[12:13], v[36:37]
	;; [unrolled: 1-line block ×3, first 2 shown]
	v_add_f64 v[42:43], v[50:51], -v[46:47]
	v_fma_f64 v[34:35], v[34:35], -0.5, v[40:41]
	v_add_f64 v[46:47], v[46:47], -v[54:55]
	v_add_f64 v[67:68], v[52:53], -v[54:55]
	;; [unrolled: 1-line block ×3, first 2 shown]
	v_fma_f64 v[40:41], v[63:64], -0.5, v[40:41]
	v_fma_f64 v[36:37], v[44:45], s[12:13], v[38:39]
	v_fma_f64 v[30:31], v[44:45], s[10:11], v[30:31]
	;; [unrolled: 1-line block ×3, first 2 shown]
	v_add_f64 v[44:45], v[69:70], v[24:25]
	v_add_f64 v[22:23], v[73:74], v[54:55]
	v_fma_f64 v[52:53], v[46:47], s[12:13], v[34:35]
	v_add_f64 v[54:55], v[48:49], -v[24:25]
	v_add_f64 v[63:64], v[32:33], -v[28:29]
	v_add_f64 v[42:43], v[42:43], v[67:68]
	v_fma_f64 v[67:68], v[50:51], s[8:9], v[40:41]
	v_add_f64 v[24:25], v[24:25], -v[48:49]
	v_add_f64 v[48:49], v[28:29], -v[32:33]
	v_fma_f64 v[34:35], v[46:47], s[8:9], v[34:35]
	v_fma_f64 v[40:41], v[50:51], s[12:13], v[40:41]
	v_add_f64 v[28:29], v[44:45], v[28:29]
	v_fma_f64 v[44:45], v[50:51], s[10:11], v[52:53]
	v_add_f64 v[52:53], v[54:55], v[63:64]
	v_fma_f64 v[36:37], v[61:62], s[4:5], v[36:37]
	v_fma_f64 v[54:55], v[46:47], s[10:11], v[67:68]
	v_add_f64 v[48:49], v[24:25], v[48:49]
	v_fma_f64 v[38:39], v[61:62], s[10:11], v[38:39]
	v_fma_f64 v[50:51], v[50:51], s[4:5], v[34:35]
	;; [unrolled: 1-line block ×3, first 2 shown]
	v_add_f64 v[24:25], v[28:29], v[32:33]
	v_fma_f64 v[28:29], v[52:53], s[6:7], v[44:45]
	v_fma_f64 v[34:35], v[42:43], s[6:7], v[36:37]
	;; [unrolled: 1-line block ×7, first 2 shown]
	ds_write_b128 v60, v[2:5]
	ds_write_b128 v60, v[6:9] offset:5600
	ds_write_b128 v60, v[14:17] offset:11200
	;; [unrolled: 1-line block ×9, first 2 shown]
	s_waitcnt lgkmcnt(0)
	s_barrier
	s_and_saveexec_b64 s[4:5], s[0:1]
	s_cbranch_execz .LBB0_23
; %bb.22:
	v_lshl_add_u32 v12, v56, 4, 0
	v_mov_b32_e32 v57, v1
	ds_read_b128 v[2:5], v12
	v_mov_b32_e32 v0, s3
	v_add_co_u32_e32 v13, vcc, s2, v58
	v_lshlrev_b64 v[6:7], 4, v[56:57]
	v_addc_co_u32_e32 v14, vcc, v0, v59, vcc
	v_add_co_u32_e32 v10, vcc, v13, v6
	v_addc_co_u32_e32 v11, vcc, v14, v7, vcc
	ds_read_b128 v[6:9], v12 offset:2800
	v_add_u32_e32 v0, 0xaf, v56
	s_waitcnt lgkmcnt(1)
	global_store_dwordx4 v[10:11], v[2:5], off
	s_nop 0
	v_lshlrev_b64 v[2:3], 4, v[0:1]
	v_add_u32_e32 v0, 0x15e, v56
	v_add_co_u32_e32 v2, vcc, v13, v2
	v_addc_co_u32_e32 v3, vcc, v14, v3, vcc
	s_waitcnt lgkmcnt(0)
	global_store_dwordx4 v[2:3], v[6:9], off
	ds_read_b128 v[2:5], v12 offset:5600
	v_lshlrev_b64 v[6:7], 4, v[0:1]
	v_add_u32_e32 v0, 0x20d, v56
	v_add_co_u32_e32 v10, vcc, v13, v6
	v_addc_co_u32_e32 v11, vcc, v14, v7, vcc
	ds_read_b128 v[6:9], v12 offset:8400
	s_waitcnt lgkmcnt(1)
	global_store_dwordx4 v[10:11], v[2:5], off
	s_nop 0
	v_lshlrev_b64 v[2:3], 4, v[0:1]
	v_add_u32_e32 v0, 0x2bc, v56
	v_add_co_u32_e32 v2, vcc, v13, v2
	v_addc_co_u32_e32 v3, vcc, v14, v3, vcc
	s_waitcnt lgkmcnt(0)
	global_store_dwordx4 v[2:3], v[6:9], off
	ds_read_b128 v[2:5], v12 offset:11200
	v_lshlrev_b64 v[6:7], 4, v[0:1]
	v_add_u32_e32 v0, 0x36b, v56
	v_add_co_u32_e32 v10, vcc, v13, v6
	v_addc_co_u32_e32 v11, vcc, v14, v7, vcc
	ds_read_b128 v[6:9], v12 offset:14000
	;; [unrolled: 15-line block ×4, first 2 shown]
	v_lshlrev_b64 v[0:1], 4, v[0:1]
	s_waitcnt lgkmcnt(1)
	global_store_dwordx4 v[10:11], v[2:5], off
	v_add_co_u32_e32 v0, vcc, v13, v0
	v_addc_co_u32_e32 v1, vcc, v14, v1, vcc
	s_waitcnt lgkmcnt(0)
	global_store_dwordx4 v[0:1], v[6:9], off
.LBB0_23:
	s_endpgm
	.section	.rodata,"a",@progbits
	.p2align	6, 0x0
	.amdhsa_kernel fft_rtc_fwd_len1750_factors_2_5_5_7_5_wgs_175_tpt_175_halfLds_dp_ip_CI_unitstride_sbrr_C2R_dirReg
		.amdhsa_group_segment_fixed_size 0
		.amdhsa_private_segment_fixed_size 0
		.amdhsa_kernarg_size 88
		.amdhsa_user_sgpr_count 6
		.amdhsa_user_sgpr_private_segment_buffer 1
		.amdhsa_user_sgpr_dispatch_ptr 0
		.amdhsa_user_sgpr_queue_ptr 0
		.amdhsa_user_sgpr_kernarg_segment_ptr 1
		.amdhsa_user_sgpr_dispatch_id 0
		.amdhsa_user_sgpr_flat_scratch_init 0
		.amdhsa_user_sgpr_private_segment_size 0
		.amdhsa_uses_dynamic_stack 0
		.amdhsa_system_sgpr_private_segment_wavefront_offset 0
		.amdhsa_system_sgpr_workgroup_id_x 1
		.amdhsa_system_sgpr_workgroup_id_y 0
		.amdhsa_system_sgpr_workgroup_id_z 0
		.amdhsa_system_sgpr_workgroup_info 0
		.amdhsa_system_vgpr_workitem_id 0
		.amdhsa_next_free_vgpr 115
		.amdhsa_next_free_sgpr 28
		.amdhsa_reserve_vcc 1
		.amdhsa_reserve_flat_scratch 0
		.amdhsa_float_round_mode_32 0
		.amdhsa_float_round_mode_16_64 0
		.amdhsa_float_denorm_mode_32 3
		.amdhsa_float_denorm_mode_16_64 3
		.amdhsa_dx10_clamp 1
		.amdhsa_ieee_mode 1
		.amdhsa_fp16_overflow 0
		.amdhsa_exception_fp_ieee_invalid_op 0
		.amdhsa_exception_fp_denorm_src 0
		.amdhsa_exception_fp_ieee_div_zero 0
		.amdhsa_exception_fp_ieee_overflow 0
		.amdhsa_exception_fp_ieee_underflow 0
		.amdhsa_exception_fp_ieee_inexact 0
		.amdhsa_exception_int_div_zero 0
	.end_amdhsa_kernel
	.text
.Lfunc_end0:
	.size	fft_rtc_fwd_len1750_factors_2_5_5_7_5_wgs_175_tpt_175_halfLds_dp_ip_CI_unitstride_sbrr_C2R_dirReg, .Lfunc_end0-fft_rtc_fwd_len1750_factors_2_5_5_7_5_wgs_175_tpt_175_halfLds_dp_ip_CI_unitstride_sbrr_C2R_dirReg
                                        ; -- End function
	.section	.AMDGPU.csdata,"",@progbits
; Kernel info:
; codeLenInByte = 10240
; NumSgprs: 32
; NumVgprs: 115
; ScratchSize: 0
; MemoryBound: 0
; FloatMode: 240
; IeeeMode: 1
; LDSByteSize: 0 bytes/workgroup (compile time only)
; SGPRBlocks: 3
; VGPRBlocks: 28
; NumSGPRsForWavesPerEU: 32
; NumVGPRsForWavesPerEU: 115
; Occupancy: 2
; WaveLimiterHint : 1
; COMPUTE_PGM_RSRC2:SCRATCH_EN: 0
; COMPUTE_PGM_RSRC2:USER_SGPR: 6
; COMPUTE_PGM_RSRC2:TRAP_HANDLER: 0
; COMPUTE_PGM_RSRC2:TGID_X_EN: 1
; COMPUTE_PGM_RSRC2:TGID_Y_EN: 0
; COMPUTE_PGM_RSRC2:TGID_Z_EN: 0
; COMPUTE_PGM_RSRC2:TIDIG_COMP_CNT: 0
	.type	__hip_cuid_12a2ade9506c3021,@object ; @__hip_cuid_12a2ade9506c3021
	.section	.bss,"aw",@nobits
	.globl	__hip_cuid_12a2ade9506c3021
__hip_cuid_12a2ade9506c3021:
	.byte	0                               ; 0x0
	.size	__hip_cuid_12a2ade9506c3021, 1

	.ident	"AMD clang version 19.0.0git (https://github.com/RadeonOpenCompute/llvm-project roc-6.4.0 25133 c7fe45cf4b819c5991fe208aaa96edf142730f1d)"
	.section	".note.GNU-stack","",@progbits
	.addrsig
	.addrsig_sym __hip_cuid_12a2ade9506c3021
	.amdgpu_metadata
---
amdhsa.kernels:
  - .args:
      - .actual_access:  read_only
        .address_space:  global
        .offset:         0
        .size:           8
        .value_kind:     global_buffer
      - .offset:         8
        .size:           8
        .value_kind:     by_value
      - .actual_access:  read_only
        .address_space:  global
        .offset:         16
        .size:           8
        .value_kind:     global_buffer
      - .actual_access:  read_only
        .address_space:  global
        .offset:         24
        .size:           8
        .value_kind:     global_buffer
      - .offset:         32
        .size:           8
        .value_kind:     by_value
      - .actual_access:  read_only
        .address_space:  global
        .offset:         40
        .size:           8
        .value_kind:     global_buffer
      - .actual_access:  read_only
        .address_space:  global
        .offset:         48
        .size:           8
        .value_kind:     global_buffer
      - .offset:         56
        .size:           4
        .value_kind:     by_value
      - .actual_access:  read_only
        .address_space:  global
        .offset:         64
        .size:           8
        .value_kind:     global_buffer
      - .actual_access:  read_only
        .address_space:  global
        .offset:         72
        .size:           8
        .value_kind:     global_buffer
      - .address_space:  global
        .offset:         80
        .size:           8
        .value_kind:     global_buffer
    .group_segment_fixed_size: 0
    .kernarg_segment_align: 8
    .kernarg_segment_size: 88
    .language:       OpenCL C
    .language_version:
      - 2
      - 0
    .max_flat_workgroup_size: 175
    .name:           fft_rtc_fwd_len1750_factors_2_5_5_7_5_wgs_175_tpt_175_halfLds_dp_ip_CI_unitstride_sbrr_C2R_dirReg
    .private_segment_fixed_size: 0
    .sgpr_count:     32
    .sgpr_spill_count: 0
    .symbol:         fft_rtc_fwd_len1750_factors_2_5_5_7_5_wgs_175_tpt_175_halfLds_dp_ip_CI_unitstride_sbrr_C2R_dirReg.kd
    .uniform_work_group_size: 1
    .uses_dynamic_stack: false
    .vgpr_count:     115
    .vgpr_spill_count: 0
    .wavefront_size: 64
amdhsa.target:   amdgcn-amd-amdhsa--gfx906
amdhsa.version:
  - 1
  - 2
...

	.end_amdgpu_metadata
